;; amdgpu-corpus repo=ROCm/rocFFT kind=compiled arch=gfx906 opt=O3
	.text
	.amdgcn_target "amdgcn-amd-amdhsa--gfx906"
	.amdhsa_code_object_version 6
	.protected	bluestein_single_back_len1470_dim1_dp_op_CI_CI ; -- Begin function bluestein_single_back_len1470_dim1_dp_op_CI_CI
	.globl	bluestein_single_back_len1470_dim1_dp_op_CI_CI
	.p2align	8
	.type	bluestein_single_back_len1470_dim1_dp_op_CI_CI,@function
bluestein_single_back_len1470_dim1_dp_op_CI_CI: ; @bluestein_single_back_len1470_dim1_dp_op_CI_CI
; %bb.0:
	s_load_dwordx4 s[12:15], s[4:5], 0x28
	v_mul_u32_u24_e32 v1, 0x139, v0
	v_add_u32_sdwa v152, s6, v1 dst_sel:DWORD dst_unused:UNUSED_PAD src0_sel:DWORD src1_sel:WORD_1
	v_mov_b32_e32 v153, 0
	s_waitcnt lgkmcnt(0)
	v_cmp_gt_u64_e32 vcc, s[12:13], v[152:153]
	s_and_saveexec_b64 s[0:1], vcc
	s_cbranch_execz .LBB0_31
; %bb.1:
	s_load_dwordx4 s[0:3], s[4:5], 0x18
	s_load_dwordx2 s[16:17], s[4:5], 0x0
	s_waitcnt lgkmcnt(0)
	s_load_dwordx4 s[8:11], s[0:1], 0x0
	s_movk_i32 s0, 0xd2
	v_mul_lo_u16_sdwa v1, v1, s0 dst_sel:DWORD dst_unused:UNUSED_PAD src0_sel:WORD_1 src1_sel:DWORD
	v_sub_u16_e32 v156, v0, v1
	v_lshlrev_b32_e32 v153, 4, v156
	s_waitcnt lgkmcnt(0)
	v_mad_u64_u32 v[0:1], s[0:1], s10, v152, 0
	v_mad_u64_u32 v[2:3], s[0:1], s8, v156, 0
	v_add_co_u32_e64 v154, s[6:7], s16, v153
	v_mad_u64_u32 v[4:5], s[0:1], s11, v152, v[1:2]
	v_mad_u64_u32 v[5:6], s[0:1], s9, v156, v[3:4]
	v_mov_b32_e32 v1, v4
	v_lshlrev_b64 v[0:1], 4, v[0:1]
	v_mov_b32_e32 v6, s15
	v_mov_b32_e32 v3, v5
	v_add_co_u32_e32 v4, vcc, s14, v0
	v_addc_co_u32_e32 v5, vcc, v6, v1, vcc
	v_lshlrev_b64 v[0:1], 4, v[2:3]
	s_mul_i32 s0, s9, 0x2df
	s_mul_hi_u32 s1, s8, 0x2df
	v_add_co_u32_e32 v0, vcc, v4, v0
	v_mov_b32_e32 v2, s17
	s_add_i32 s1, s1, s0
	s_mul_i32 s0, s8, 0x2df
	v_addc_co_u32_e32 v1, vcc, v5, v1, vcc
	v_addc_co_u32_e64 v155, vcc, 0, v2, s[6:7]
	s_lshl_b64 s[14:15], s[0:1], 4
	v_mov_b32_e32 v18, s15
	v_add_co_u32_e32 v4, vcc, s14, v0
	v_addc_co_u32_e32 v5, vcc, v1, v18, vcc
	s_movk_i32 s0, 0x2000
	s_mul_hi_u32 s1, s8, 0xfffffdf3
	global_load_dwordx4 v[26:29], v[0:1], off
	global_load_dwordx4 v[30:33], v[4:5], off
	v_add_co_u32_e32 v0, vcc, s0, v154
	s_mul_i32 s0, s9, 0xfffffdf3
	s_sub_i32 s1, s1, s8
	s_add_i32 s1, s1, s0
	s_mul_i32 s0, s8, 0xfffffdf3
	v_addc_co_u32_e32 v1, vcc, 0, v155, vcc
	s_lshl_b64 s[18:19], s[0:1], 4
	v_mov_b32_e32 v14, s19
	v_add_co_u32_e32 v8, vcc, s18, v4
	v_addc_co_u32_e32 v9, vcc, v5, v14, vcc
	v_add_co_u32_e32 v12, vcc, s14, v8
	v_addc_co_u32_e32 v13, vcc, v9, v18, vcc
	s_movk_i32 s0, 0x3000
	global_load_dwordx4 v[0:3], v[0:1], off offset:3568
	s_nop 0
	global_load_dwordx4 v[20:23], v153, s[16:17]
	global_load_dwordx4 v[4:7], v153, s[16:17] offset:3360
	global_load_dwordx4 v[34:37], v[8:9], off
	global_load_dwordx4 v[38:41], v[12:13], off
	v_add_co_u32_e32 v8, vcc, s0, v154
	v_addc_co_u32_e32 v9, vcc, 0, v155, vcc
	v_add_co_u32_e32 v16, vcc, s18, v12
	v_addc_co_u32_e32 v17, vcc, v13, v14, vcc
	s_movk_i32 s0, 0x1000
	v_add_co_u32_e32 v12, vcc, s0, v154
	v_addc_co_u32_e32 v13, vcc, 0, v155, vcc
	v_add_co_u32_e32 v24, vcc, s14, v16
	v_addc_co_u32_e32 v25, vcc, v17, v18, vcc
	s_movk_i32 s0, 0x4000
	global_load_dwordx4 v[8:11], v[8:9], off offset:2832
	v_add_co_u32_e32 v50, vcc, s0, v154
	global_load_dwordx4 v[12:15], v[12:13], off offset:2624
	v_addc_co_u32_e32 v51, vcc, 0, v155, vcc
	global_load_dwordx4 v[42:45], v[16:17], off
	s_nop 0
	global_load_dwordx4 v[16:19], v[50:51], off offset:2096
	global_load_dwordx4 v[46:49], v[24:25], off
	s_load_dwordx2 s[12:13], s[4:5], 0x38
	s_load_dwordx4 s[8:11], s[2:3], 0x0
	s_movk_i32 s0, 0x69
	v_cmp_gt_u16_e64 s[0:1], s0, v156
	s_waitcnt vmcnt(9)
	v_mul_f64 v[54:55], v[32:33], v[2:3]
	s_waitcnt vmcnt(8)
	v_mul_f64 v[50:51], v[28:29], v[22:23]
	v_mul_f64 v[52:53], v[26:27], v[22:23]
	;; [unrolled: 1-line block ×3, first 2 shown]
	s_waitcnt vmcnt(6)
	v_mul_f64 v[58:59], v[36:37], v[6:7]
	v_mul_f64 v[60:61], v[34:35], v[6:7]
	v_fma_f64 v[30:31], v[30:31], v[0:1], v[54:55]
	v_fma_f64 v[26:27], v[26:27], v[20:21], v[50:51]
	v_fma_f64 v[28:29], v[28:29], v[20:21], -v[52:53]
	v_fma_f64 v[32:33], v[32:33], v[0:1], -v[56:57]
	v_fma_f64 v[34:35], v[34:35], v[4:5], v[58:59]
	v_fma_f64 v[36:37], v[36:37], v[4:5], -v[60:61]
	s_waitcnt vmcnt(4)
	v_mul_f64 v[62:63], v[40:41], v[10:11]
	v_mul_f64 v[64:65], v[38:39], v[10:11]
	s_waitcnt vmcnt(2)
	v_mul_f64 v[66:67], v[44:45], v[14:15]
	v_mul_f64 v[68:69], v[42:43], v[14:15]
	;; [unrolled: 3-line block ×3, first 2 shown]
	v_fma_f64 v[38:39], v[38:39], v[8:9], v[62:63]
	v_fma_f64 v[40:41], v[40:41], v[8:9], -v[64:65]
	v_fma_f64 v[42:43], v[42:43], v[12:13], v[66:67]
	v_fma_f64 v[44:45], v[44:45], v[12:13], -v[68:69]
	;; [unrolled: 2-line block ×3, first 2 shown]
	ds_write_b128 v153, v[26:29]
	ds_write_b128 v153, v[30:33] offset:11760
	ds_write_b128 v153, v[34:37] offset:3360
	;; [unrolled: 1-line block ×5, first 2 shown]
	s_and_saveexec_b64 s[2:3], s[0:1]
	s_cbranch_execz .LBB0_3
; %bb.2:
	v_mov_b32_e32 v26, s19
	v_add_co_u32_e32 v32, vcc, s18, v24
	v_addc_co_u32_e32 v33, vcc, v25, v26, vcc
	v_add_co_u32_e32 v28, vcc, 0x2000, v154
	v_addc_co_u32_e32 v29, vcc, 0, v155, vcc
	v_mov_b32_e32 v34, s15
	v_add_co_u32_e32 v40, vcc, s14, v32
	v_addc_co_u32_e32 v41, vcc, v33, v34, vcc
	s_movk_i32 s14, 0x5000
	v_add_co_u32_e32 v42, vcc, s14, v154
	global_load_dwordx4 v[24:27], v[32:33], off
	v_addc_co_u32_e32 v43, vcc, 0, v155, vcc
	global_load_dwordx4 v[28:31], v[28:29], off offset:1888
	s_nop 0
	global_load_dwordx4 v[32:35], v[42:43], off offset:1360
	global_load_dwordx4 v[36:39], v[40:41], off
	s_waitcnt vmcnt(2)
	v_mul_f64 v[40:41], v[26:27], v[30:31]
	v_mul_f64 v[30:31], v[24:25], v[30:31]
	s_waitcnt vmcnt(0)
	v_mul_f64 v[42:43], v[38:39], v[34:35]
	v_mul_f64 v[34:35], v[36:37], v[34:35]
	v_fma_f64 v[24:25], v[24:25], v[28:29], v[40:41]
	v_fma_f64 v[26:27], v[26:27], v[28:29], -v[30:31]
	v_fma_f64 v[28:29], v[36:37], v[32:33], v[42:43]
	v_fma_f64 v[30:31], v[38:39], v[32:33], -v[34:35]
	ds_write_b128 v153, v[24:27] offset:10080
	ds_write_b128 v153, v[28:31] offset:21840
.LBB0_3:
	s_or_b64 exec, exec, s[2:3]
	s_waitcnt lgkmcnt(0)
	s_barrier
	ds_read_b128 v[24:27], v153
	ds_read_b128 v[32:35], v153 offset:3360
	ds_read_b128 v[52:55], v153 offset:11760
	;; [unrolled: 1-line block ×5, first 2 shown]
                                        ; implicit-def: $vgpr40_vgpr41
                                        ; implicit-def: $vgpr44_vgpr45
	s_and_saveexec_b64 s[2:3], s[0:1]
	s_cbranch_execz .LBB0_5
; %bb.4:
	ds_read_b128 v[40:43], v153 offset:10080
	ds_read_b128 v[44:47], v153 offset:21840
.LBB0_5:
	s_or_b64 exec, exec, s[2:3]
	s_waitcnt lgkmcnt(3)
	v_add_f64 v[52:53], v[24:25], -v[52:53]
	v_add_f64 v[54:55], v[26:27], -v[54:55]
	s_waitcnt lgkmcnt(1)
	v_add_f64 v[48:49], v[32:33], -v[48:49]
	v_add_f64 v[50:51], v[34:35], -v[50:51]
	;; [unrolled: 3-line block ×3, first 2 shown]
	v_add_f64 v[28:29], v[40:41], -v[44:45]
	v_add_f64 v[30:31], v[42:43], -v[46:47]
	v_fma_f64 v[44:45], v[24:25], 2.0, -v[52:53]
	v_fma_f64 v[46:47], v[26:27], 2.0, -v[54:55]
	;; [unrolled: 1-line block ×8, first 2 shown]
	s_load_dwordx2 s[14:15], s[4:5], 0x8
	s_movk_i32 s2, 0xd2
	v_add_co_u32_e32 v104, vcc, s2, v156
	s_movk_i32 s2, 0x1a4
	v_add_co_u32_e32 v68, vcc, s2, v156
	;; [unrolled: 2-line block ×3, first 2 shown]
	v_lshlrev_b16_e32 v40, 1, v156
	v_lshlrev_b32_e32 v160, 4, v40
	v_lshlrev_b32_e32 v161, 5, v104
	;; [unrolled: 1-line block ×4, first 2 shown]
	s_waitcnt lgkmcnt(0)
	s_barrier
	ds_write_b128 v160, v[44:47]
	ds_write_b128 v160, v[52:55] offset:16
	ds_write_b128 v161, v[32:35]
	ds_write_b128 v161, v[48:51] offset:16
	;; [unrolled: 2-line block ×3, first 2 shown]
	s_and_saveexec_b64 s[2:3], s[0:1]
	s_cbranch_execz .LBB0_7
; %bb.6:
	ds_write_b128 v158, v[24:27]
	ds_write_b128 v158, v[28:31] offset:16
.LBB0_7:
	s_or_b64 exec, exec, s[2:3]
	s_waitcnt lgkmcnt(0)
	s_barrier
	ds_read_b128 v[36:39], v153
	ds_read_b128 v[32:35], v153 offset:3360
	ds_read_b128 v[56:59], v153 offset:7840
	;; [unrolled: 1-line block ×5, first 2 shown]
	s_movk_i32 s2, 0x46
	v_cmp_gt_u16_e64 s[2:3], s2, v156
                                        ; implicit-def: $vgpr64_vgpr65
	s_and_saveexec_b64 s[4:5], s[2:3]
	s_cbranch_execz .LBB0_9
; %bb.8:
	ds_read_b128 v[24:27], v153 offset:6720
	ds_read_b128 v[28:31], v153 offset:14560
	;; [unrolled: 1-line block ×3, first 2 shown]
.LBB0_9:
	s_or_b64 exec, exec, s[4:5]
	v_and_b32_e32 v157, 1, v156
	v_lshlrev_b32_e32 v69, 5, v157
	global_load_dwordx4 v[44:47], v69, s[14:15]
	global_load_dwordx4 v[40:43], v69, s[14:15] offset:16
	v_lshrrev_b32_e32 v69, 1, v156
	v_lshrrev_b32_e32 v70, 1, v104
	v_mul_u32_u24_e32 v69, 6, v69
	v_mul_u32_u24_e32 v70, 6, v70
	v_or_b32_e32 v69, v69, v157
	v_or_b32_e32 v70, v70, v157
	v_lshlrev_b32_e32 v163, 4, v69
	v_lshlrev_b32_e32 v159, 4, v70
	s_mov_b32 s4, 0xe8584caa
	s_mov_b32 s5, 0x3febb67a
	;; [unrolled: 1-line block ×4, first 2 shown]
	v_lshrrev_b32_e32 v164, 1, v68
	s_waitcnt vmcnt(0) lgkmcnt(0)
	s_barrier
	v_mul_f64 v[69:70], v[58:59], v[46:47]
	v_mul_f64 v[71:72], v[56:57], v[46:47]
	;; [unrolled: 1-line block ×12, first 2 shown]
	v_fma_f64 v[56:57], v[56:57], v[44:45], -v[69:70]
	v_fma_f64 v[58:59], v[58:59], v[44:45], v[71:72]
	v_fma_f64 v[60:61], v[60:61], v[40:41], -v[73:74]
	v_fma_f64 v[62:63], v[62:63], v[40:41], v[75:76]
	;; [unrolled: 2-line block ×6, first 2 shown]
	v_add_f64 v[69:70], v[36:37], v[56:57]
	v_add_f64 v[71:72], v[56:57], v[60:61]
	v_add_f64 v[76:77], v[58:59], -v[62:63]
	v_add_f64 v[73:74], v[38:39], v[58:59]
	v_add_f64 v[58:59], v[58:59], v[62:63]
	;; [unrolled: 1-line block ×4, first 2 shown]
	v_add_f64 v[82:83], v[50:51], -v[54:55]
	v_add_f64 v[84:85], v[34:35], v[50:51]
	v_add_f64 v[50:51], v[50:51], v[54:55]
	;; [unrolled: 1-line block ×4, first 2 shown]
	v_add_f64 v[56:57], v[56:57], -v[60:61]
	v_add_f64 v[86:87], v[48:49], -v[52:53]
	v_add_f64 v[48:49], v[24:25], v[28:29]
	v_add_f64 v[90:91], v[30:31], -v[66:67]
	v_add_f64 v[92:93], v[26:27], v[30:31]
	;; [unrolled: 2-line block ×3, first 2 shown]
	v_fma_f64 v[60:61], v[71:72], -0.5, v[36:37]
	v_add_f64 v[30:31], v[73:74], v[62:63]
	v_fma_f64 v[58:59], v[58:59], -0.5, v[38:39]
	v_add_f64 v[36:37], v[78:79], v[52:53]
	;; [unrolled: 2-line block ×3, first 2 shown]
	v_fma_f64 v[54:55], v[50:51], -0.5, v[34:35]
	v_fma_f64 v[62:63], v[88:89], -0.5, v[24:25]
	v_fma_f64 v[69:70], v[94:95], -0.5, v[26:27]
	v_add_f64 v[72:73], v[48:49], v[64:65]
	v_add_f64 v[74:75], v[92:93], v[66:67]
	v_fma_f64 v[24:25], v[76:77], s[4:5], v[60:61]
	v_fma_f64 v[32:33], v[76:77], s[18:19], v[60:61]
	;; [unrolled: 1-line block ×12, first 2 shown]
	ds_write_b128 v163, v[28:31]
	ds_write_b128 v163, v[24:27] offset:32
	ds_write_b128 v163, v[32:35] offset:64
	ds_write_b128 v159, v[36:39]
	ds_write_b128 v159, v[48:51] offset:32
	ds_write_b128 v159, v[64:67] offset:64
	s_and_saveexec_b64 s[4:5], s[2:3]
	s_cbranch_execz .LBB0_11
; %bb.10:
	v_mul_u32_u24_e32 v24, 6, v164
	v_or_b32_e32 v24, v24, v157
	v_lshlrev_b32_e32 v24, 4, v24
	ds_write_b128 v24, v[72:75]
	ds_write_b128 v24, v[76:79] offset:32
	ds_write_b128 v24, v[80:83] offset:64
.LBB0_11:
	s_or_b64 exec, exec, s[4:5]
	s_waitcnt lgkmcnt(0)
	s_barrier
	ds_read_b128 v[68:71], v153
	ds_read_b128 v[96:99], v153 offset:4704
	ds_read_b128 v[92:95], v153 offset:9408
	;; [unrolled: 1-line block ×4, first 2 shown]
	s_movk_i32 s4, 0x54
	v_cmp_gt_u16_e64 s[4:5], s4, v156
                                        ; implicit-def: $vgpr100_vgpr101
	s_and_saveexec_b64 s[18:19], s[4:5]
	s_cbranch_execz .LBB0_13
; %bb.12:
	ds_read_b128 v[64:67], v153 offset:3360
	ds_read_b128 v[72:75], v153 offset:8064
	;; [unrolled: 1-line block ×5, first 2 shown]
.LBB0_13:
	s_or_b64 exec, exec, s[18:19]
	s_movk_i32 s16, 0xab
	v_mul_lo_u16_sdwa v24, v156, s16 dst_sel:DWORD dst_unused:UNUSED_PAD src0_sel:BYTE_0 src1_sel:DWORD
	v_lshrrev_b16_e32 v169, 10, v24
	v_mul_lo_u16_e32 v24, 6, v169
	v_sub_u16_e32 v24, v156, v24
	v_and_b32_e32 v170, 0xff, v24
	v_lshlrev_b32_e32 v24, 6, v170
	global_load_dwordx4 v[48:51], v24, s[14:15] offset:112
	global_load_dwordx4 v[52:55], v24, s[14:15] offset:96
	;; [unrolled: 1-line block ×4, first 2 shown]
	s_mov_b32 s16, 0xaaab
	v_mul_u32_u24_sdwa v24, v104, s16 dst_sel:DWORD dst_unused:UNUSED_PAD src0_sel:WORD_0 src1_sel:DWORD
	v_lshrrev_b32_e32 v171, 18, v24
	v_mul_lo_u16_e32 v24, 6, v171
	v_sub_u16_e32 v172, v104, v24
	v_lshlrev_b16_e32 v24, 6, v172
	v_mov_b32_e32 v25, s15
	v_add_co_u32_e32 v104, vcc, s14, v24
	v_addc_co_u32_e32 v105, vcc, 0, v25, vcc
	global_load_dwordx4 v[24:27], v[104:105], off offset:64
	global_load_dwordx4 v[36:39], v[104:105], off offset:80
	;; [unrolled: 1-line block ×4, first 2 shown]
	s_mov_b32 s18, 0x134454ff
	s_mov_b32 s19, 0x3fee6f0e
	;; [unrolled: 1-line block ×10, first 2 shown]
	s_waitcnt vmcnt(0) lgkmcnt(0)
	s_barrier
	v_mul_f64 v[116:117], v[86:87], v[50:51]
	v_mul_f64 v[112:113], v[90:91], v[54:55]
	;; [unrolled: 1-line block ×8, first 2 shown]
	v_fma_f64 v[88:89], v[88:89], v[52:53], -v[112:113]
	v_fma_f64 v[96:97], v[96:97], v[60:61], -v[104:105]
	;; [unrolled: 1-line block ×3, first 2 shown]
	v_mul_f64 v[124:125], v[78:79], v[38:39]
	v_mul_f64 v[122:123], v[72:73], v[26:27]
	;; [unrolled: 1-line block ×7, first 2 shown]
	v_fma_f64 v[98:99], v[98:99], v[60:61], v[106:107]
	v_fma_f64 v[106:107], v[94:95], v[56:57], v[110:111]
	;; [unrolled: 1-line block ×3, first 2 shown]
	v_fma_f64 v[108:109], v[84:85], v[48:49], -v[116:117]
	v_fma_f64 v[110:111], v[86:87], v[48:49], v[118:119]
	v_fma_f64 v[84:85], v[76:77], v[36:37], -v[124:125]
	v_fma_f64 v[76:77], v[102:103], v[28:29], v[134:135]
	v_add_f64 v[102:103], v[68:69], v[96:97]
	v_add_f64 v[112:113], v[104:105], v[88:89]
	v_mul_f64 v[120:121], v[74:75], v[26:27]
	v_fma_f64 v[94:95], v[74:75], v[24:25], v[122:123]
	v_fma_f64 v[86:87], v[78:79], v[36:37], v[126:127]
	v_fma_f64 v[74:75], v[80:81], v[32:33], -v[128:129]
	v_fma_f64 v[78:79], v[82:83], v[32:33], v[130:131]
	v_add_f64 v[114:115], v[98:99], -v[110:111]
	v_add_f64 v[122:123], v[96:97], v[108:109]
	v_add_f64 v[128:129], v[70:71], v[98:99]
	;; [unrolled: 1-line block ×3, first 2 shown]
	v_fma_f64 v[112:113], v[112:113], -0.5, v[68:69]
	v_add_f64 v[102:103], v[102:103], v[104:105]
	v_fma_f64 v[92:93], v[72:73], v[24:25], -v[120:121]
	v_fma_f64 v[72:73], v[100:101], v[28:29], -v[132:133]
	v_add_f64 v[116:117], v[106:107], -v[90:91]
	v_add_f64 v[118:119], v[96:97], -v[104:105]
	;; [unrolled: 1-line block ×7, first 2 shown]
	v_add_f64 v[140:141], v[98:99], v[110:111]
	v_add_f64 v[144:145], v[84:85], v[74:75]
	v_fma_f64 v[122:123], v[122:123], -0.5, v[68:69]
	v_fma_f64 v[130:131], v[130:131], -0.5, v[70:71]
	v_add_f64 v[104:105], v[128:129], v[106:107]
	v_add_f64 v[88:89], v[102:103], v[88:89]
	v_fma_f64 v[102:103], v[114:115], s[18:19], v[112:113]
	v_add_f64 v[136:137], v[98:99], -v[106:107]
	v_add_f64 v[138:139], v[110:111], -v[90:91]
	;; [unrolled: 1-line block ×5, first 2 shown]
	v_add_f64 v[150:151], v[92:93], v[72:73]
	v_add_f64 v[165:166], v[86:87], v[78:79]
	;; [unrolled: 1-line block ×3, first 2 shown]
	v_fma_f64 v[140:141], v[140:141], -0.5, v[70:71]
	v_add_f64 v[118:119], v[118:119], v[120:121]
	v_fma_f64 v[68:69], v[144:145], -0.5, v[64:65]
	v_fma_f64 v[106:107], v[114:115], s[26:27], v[112:113]
	v_fma_f64 v[112:113], v[116:117], s[26:27], v[122:123]
	;; [unrolled: 1-line block ×3, first 2 shown]
	v_add_f64 v[90:91], v[104:105], v[90:91]
	v_fma_f64 v[128:129], v[132:133], s[26:27], v[130:131]
	v_fma_f64 v[130:131], v[132:133], s[18:19], v[130:131]
	v_add_f64 v[104:105], v[88:89], v[108:109]
	v_fma_f64 v[88:89], v[116:117], s[20:21], v[102:103]
	v_add_f64 v[82:83], v[86:87], -v[78:79]
	v_add_f64 v[100:101], v[92:93], -v[72:73]
	;; [unrolled: 1-line block ×3, first 2 shown]
	v_add_f64 v[120:121], v[124:125], v[126:127]
	v_add_f64 v[124:125], v[136:137], v[138:139]
	;; [unrolled: 1-line block ×3, first 2 shown]
	v_fma_f64 v[126:127], v[150:151], -0.5, v[64:65]
	v_fma_f64 v[98:99], v[165:166], -0.5, v[66:67]
	v_fma_f64 v[138:139], v[134:135], s[18:19], v[140:141]
	v_fma_f64 v[140:141], v[134:135], s[26:27], v[140:141]
	;; [unrolled: 1-line block ×9, first 2 shown]
	v_fma_f64 v[88:89], v[167:168], -0.5, v[66:67]
	v_add_f64 v[146:147], v[92:93], -v[84:85]
	v_add_f64 v[148:149], v[72:73], -v[74:75]
	v_add_f64 v[106:107], v[90:91], v[110:111]
	v_fma_f64 v[90:91], v[132:133], s[24:25], v[138:139]
	v_fma_f64 v[130:131], v[132:133], s[20:21], v[140:141]
	;; [unrolled: 1-line block ×6, first 2 shown]
	v_add_f64 v[102:103], v[84:85], -v[92:93]
	v_add_f64 v[118:119], v[74:75], -v[72:73]
	v_fma_f64 v[134:135], v[82:83], s[26:27], v[126:127]
	v_add_f64 v[124:125], v[94:95], -v[86:87]
	v_add_f64 v[128:129], v[76:77], -v[78:79]
	v_fma_f64 v[126:127], v[82:83], s[18:19], v[126:127]
	v_fma_f64 v[138:139], v[100:101], s[18:19], v[98:99]
	;; [unrolled: 1-line block ×3, first 2 shown]
	v_add_f64 v[142:143], v[86:87], -v[94:95]
	v_add_f64 v[144:145], v[78:79], -v[76:77]
	v_fma_f64 v[88:89], v[96:97], s[26:27], v[88:89]
	v_add_f64 v[70:71], v[146:147], v[148:149]
	v_add_f64 v[118:119], v[102:103], v[118:119]
	;; [unrolled: 1-line block ×3, first 2 shown]
	v_fma_f64 v[124:125], v[120:121], s[22:23], v[116:117]
	v_fma_f64 v[128:129], v[120:121], s[22:23], v[122:123]
	;; [unrolled: 1-line block ×6, first 2 shown]
	v_add_f64 v[140:141], v[142:143], v[144:145]
	v_fma_f64 v[142:143], v[100:101], s[20:21], v[88:89]
	v_fma_f64 v[126:127], v[136:137], s[22:23], v[90:91]
	;; [unrolled: 1-line block ×9, first 2 shown]
	v_mul_u32_u24_e32 v132, 30, v169
	v_add_lshl_u32 v167, v132, v170, 4
	v_mad_legacy_u16 v165, v171, 30, v172
	ds_write_b128 v167, v[104:107]
	ds_write_b128 v167, v[108:111] offset:96
	ds_write_b128 v167, v[124:127] offset:192
	;; [unrolled: 1-line block ×4, first 2 shown]
	s_and_saveexec_b64 s[24:25], s[4:5]
	s_cbranch_execz .LBB0_15
; %bb.14:
	v_mul_f64 v[100:101], v[100:101], s[18:19]
	v_add_f64 v[66:67], v[66:67], v[94:95]
	v_add_f64 v[64:65], v[64:65], v[92:93]
	v_mul_f64 v[80:81], v[80:81], s[18:19]
	v_mul_f64 v[92:93], v[96:97], s[20:21]
	;; [unrolled: 1-line block ×3, first 2 shown]
	v_add_f64 v[94:95], v[98:99], -v[100:101]
	v_add_f64 v[66:67], v[66:67], v[86:87]
	v_add_f64 v[64:65], v[64:65], v[84:85]
	;; [unrolled: 1-line block ×3, first 2 shown]
	v_mul_f64 v[80:81], v[70:71], s[22:23]
	v_mul_f64 v[70:71], v[102:103], s[22:23]
	v_add_f64 v[84:85], v[94:95], -v[92:93]
	v_add_f64 v[78:79], v[66:67], v[78:79]
	v_add_f64 v[64:65], v[64:65], v[74:75]
	v_add_f64 v[74:75], v[82:83], v[68:69]
	v_add_f64 v[66:67], v[70:71], v[84:85]
	v_add_f64 v[70:71], v[78:79], v[76:77]
	v_add_f64 v[68:69], v[64:65], v[72:73]
	v_add_f64 v[64:65], v[80:81], v[74:75]
	v_lshlrev_b32_e32 v72, 4, v165
	ds_write_b128 v72, v[120:123] offset:192
	ds_write_b128 v72, v[116:119] offset:288
	ds_write_b128 v72, v[68:71]
	ds_write_b128 v72, v[64:67] offset:96
	ds_write_b128 v72, v[88:91] offset:384
.LBB0_15:
	s_or_b64 exec, exec, s[24:25]
	s_movk_i32 s16, 0x89
	v_mul_lo_u16_sdwa v64, v156, s16 dst_sel:DWORD dst_unused:UNUSED_PAD src0_sel:BYTE_0 src1_sel:DWORD
	v_lshrrev_b16_e32 v130, 12, v64
	v_mul_lo_u16_e32 v64, 30, v130
	v_sub_u16_e32 v64, v156, v64
	v_mov_b32_e32 v129, s15
	v_and_b32_e32 v131, 0xff, v64
	s_movk_i32 s16, 0x60
	v_mov_b32_e32 v128, s14
	v_mad_u64_u32 v[92:93], s[14:15], v131, s16, v[128:129]
	s_waitcnt lgkmcnt(0)
	s_barrier
	global_load_dwordx4 v[76:79], v[92:93], off offset:448
	global_load_dwordx4 v[72:75], v[92:93], off offset:464
	;; [unrolled: 1-line block ×6, first 2 shown]
	ds_read_b128 v[92:95], v153
	ds_read_b128 v[96:99], v153 offset:3360
	ds_read_b128 v[100:103], v153 offset:6720
	;; [unrolled: 1-line block ×6, first 2 shown]
	v_mul_u32_u24_e32 v130, 0xd2, v130
	v_add_lshl_u32 v166, v130, v131, 4
	s_mov_b32 s18, 0x37e14327
	s_mov_b32 s14, 0x36b3c0b5
	;; [unrolled: 1-line block ×20, first 2 shown]
	s_waitcnt vmcnt(0) lgkmcnt(0)
	s_barrier
	s_mov_b32 s33, 0x8000
	v_mul_f64 v[130:131], v[98:99], v[78:79]
	v_mul_f64 v[132:133], v[96:97], v[78:79]
	;; [unrolled: 1-line block ×12, first 2 shown]
	v_fma_f64 v[96:97], v[96:97], v[76:77], -v[130:131]
	v_fma_f64 v[98:99], v[98:99], v[76:77], v[132:133]
	v_fma_f64 v[100:101], v[100:101], v[72:73], -v[134:135]
	v_fma_f64 v[102:103], v[102:103], v[72:73], v[136:137]
	;; [unrolled: 2-line block ×6, first 2 shown]
	v_add_f64 v[130:131], v[96:97], v[124:125]
	v_add_f64 v[132:133], v[98:99], v[126:127]
	v_add_f64 v[96:97], v[96:97], -v[124:125]
	v_add_f64 v[98:99], v[98:99], -v[126:127]
	v_add_f64 v[124:125], v[100:101], v[112:113]
	v_add_f64 v[126:127], v[102:103], v[114:115]
	v_add_f64 v[100:101], v[100:101], -v[112:113]
	v_add_f64 v[102:103], v[102:103], -v[114:115]
	;; [unrolled: 4-line block ×4, first 2 shown]
	v_add_f64 v[130:131], v[130:131], -v[112:113]
	v_add_f64 v[132:133], v[132:133], -v[114:115]
	;; [unrolled: 1-line block ×4, first 2 shown]
	v_add_f64 v[138:139], v[104:105], v[100:101]
	v_add_f64 v[140:141], v[106:107], v[102:103]
	v_add_f64 v[142:143], v[104:105], -v[100:101]
	v_add_f64 v[144:145], v[106:107], -v[102:103]
	v_add_f64 v[108:109], v[112:113], v[108:109]
	v_add_f64 v[110:111], v[114:115], v[110:111]
	v_add_f64 v[100:101], v[100:101], -v[96:97]
	v_add_f64 v[102:103], v[102:103], -v[98:99]
	v_add_f64 v[104:105], v[96:97], -v[104:105]
	v_add_f64 v[106:107], v[98:99], -v[106:107]
	v_add_f64 v[96:97], v[138:139], v[96:97]
	v_add_f64 v[98:99], v[140:141], v[98:99]
	v_mul_f64 v[112:113], v[130:131], s[18:19]
	v_mul_f64 v[114:115], v[132:133], s[18:19]
	;; [unrolled: 1-line block ×6, first 2 shown]
	v_add_f64 v[92:93], v[92:93], v[108:109]
	v_add_f64 v[94:95], v[94:95], v[110:111]
	v_mul_f64 v[142:143], v[100:101], s[20:21]
	v_mul_f64 v[144:145], v[102:103], s[20:21]
	v_fma_f64 v[124:125], v[124:125], s[14:15], v[112:113]
	v_fma_f64 v[126:127], v[126:127], s[14:15], v[114:115]
	v_fma_f64 v[130:131], v[134:135], s[26:27], -v[130:131]
	v_fma_f64 v[132:133], v[136:137], s[26:27], -v[132:133]
	;; [unrolled: 1-line block ×4, first 2 shown]
	v_fma_f64 v[134:135], v[104:105], s[30:31], v[138:139]
	v_fma_f64 v[136:137], v[106:107], s[30:31], v[140:141]
	;; [unrolled: 1-line block ×4, first 2 shown]
	v_fma_f64 v[104:105], v[104:105], s[34:35], -v[142:143]
	v_fma_f64 v[106:107], v[106:107], s[34:35], -v[144:145]
	;; [unrolled: 1-line block ×4, first 2 shown]
	v_fma_f64 v[134:135], v[96:97], s[36:37], v[134:135]
	v_fma_f64 v[136:137], v[98:99], s[36:37], v[136:137]
	v_add_f64 v[124:125], v[124:125], v[108:109]
	v_add_f64 v[126:127], v[126:127], v[110:111]
	v_fma_f64 v[142:143], v[96:97], s[36:37], v[104:105]
	v_fma_f64 v[144:145], v[98:99], s[36:37], v[106:107]
	v_add_f64 v[112:113], v[112:113], v[108:109]
	v_add_f64 v[114:115], v[114:115], v[110:111]
	;; [unrolled: 4-line block ×3, first 2 shown]
	v_add_f64 v[96:97], v[136:137], v[124:125]
	v_add_f64 v[98:99], v[126:127], -v[134:135]
	v_add_f64 v[100:101], v[144:145], v[112:113]
	v_add_f64 v[102:103], v[114:115], -v[142:143]
	v_add_f64 v[112:113], v[112:113], -v[144:145]
	v_add_f64 v[114:115], v[142:143], v[114:115]
	v_add_f64 v[104:105], v[108:109], -v[140:141]
	v_add_f64 v[106:107], v[138:139], v[110:111]
	v_add_f64 v[108:109], v[140:141], v[108:109]
	v_add_f64 v[110:111], v[110:111], -v[138:139]
	v_add_f64 v[124:125], v[124:125], -v[136:137]
	v_add_f64 v[126:127], v[134:135], v[126:127]
	ds_write_b128 v166, v[92:95]
	ds_write_b128 v166, v[96:99] offset:480
	ds_write_b128 v166, v[100:103] offset:960
	;; [unrolled: 1-line block ×6, first 2 shown]
	v_mad_u64_u32 v[112:113], s[38:39], v156, s16, v[128:129]
	s_waitcnt lgkmcnt(0)
	s_barrier
	global_load_dwordx4 v[104:107], v[112:113], off offset:3328
	global_load_dwordx4 v[100:103], v[112:113], off offset:3344
	global_load_dwordx4 v[96:99], v[112:113], off offset:3360
	global_load_dwordx4 v[92:95], v[112:113], off offset:3376
	global_load_dwordx4 v[108:111], v[112:113], off offset:3408
	s_nop 0
	global_load_dwordx4 v[112:115], v[112:113], off offset:3392
	v_mov_b32_e32 v124, s17
	v_addc_co_u32_e64 v194, vcc, 0, v124, s[6:7]
	ds_read_b128 v[124:127], v153
	ds_read_b128 v[130:133], v153 offset:3360
	ds_read_b128 v[134:137], v153 offset:6720
	;; [unrolled: 1-line block ×6, first 2 shown]
	s_movk_i32 s17, 0x5be0
	v_add_co_u32_e32 v128, vcc, s17, v154
	s_movk_i32 s16, 0x5000
	v_addc_co_u32_e32 v129, vcc, 0, v194, vcc
	s_mov_b32 s38, 0x9000
	s_movk_i32 s6, 0x7000
	s_waitcnt vmcnt(5) lgkmcnt(5)
	v_mul_f64 v[150:151], v[132:133], v[106:107]
	v_mul_f64 v[172:173], v[130:131], v[106:107]
	s_waitcnt vmcnt(4) lgkmcnt(4)
	v_mul_f64 v[174:175], v[136:137], v[102:103]
	v_mul_f64 v[176:177], v[134:135], v[102:103]
	;; [unrolled: 3-line block ×3, first 2 shown]
	s_waitcnt vmcnt(0)
	v_mul_f64 v[190:191], v[148:149], v[114:115]
	v_mul_f64 v[192:193], v[146:147], v[114:115]
	;; [unrolled: 1-line block ×6, first 2 shown]
	v_fma_f64 v[130:131], v[130:131], v[104:105], -v[150:151]
	v_fma_f64 v[132:133], v[132:133], v[104:105], v[172:173]
	v_fma_f64 v[134:135], v[134:135], v[100:101], -v[174:175]
	v_fma_f64 v[136:137], v[136:137], v[100:101], v[176:177]
	;; [unrolled: 2-line block ×6, first 2 shown]
	v_add_f64 v[170:171], v[130:131], v[150:151]
	v_add_f64 v[172:173], v[132:133], v[168:169]
	v_add_f64 v[130:131], v[130:131], -v[150:151]
	v_add_f64 v[132:133], v[132:133], -v[168:169]
	v_add_f64 v[150:151], v[134:135], v[146:147]
	v_add_f64 v[168:169], v[136:137], v[148:149]
	v_add_f64 v[134:135], v[134:135], -v[146:147]
	v_add_f64 v[136:137], v[136:137], -v[148:149]
	;; [unrolled: 4-line block ×4, first 2 shown]
	v_add_f64 v[170:171], v[170:171], -v[146:147]
	v_add_f64 v[172:173], v[172:173], -v[148:149]
	;; [unrolled: 1-line block ×4, first 2 shown]
	v_add_f64 v[178:179], v[138:139], v[134:135]
	v_add_f64 v[180:181], v[140:141], v[136:137]
	v_add_f64 v[182:183], v[138:139], -v[134:135]
	v_add_f64 v[184:185], v[140:141], -v[136:137]
	v_add_f64 v[142:143], v[146:147], v[142:143]
	v_add_f64 v[144:145], v[148:149], v[144:145]
	v_add_f64 v[134:135], v[134:135], -v[130:131]
	v_add_f64 v[136:137], v[136:137], -v[132:133]
	;; [unrolled: 1-line block ×4, first 2 shown]
	v_add_f64 v[146:147], v[178:179], v[130:131]
	v_add_f64 v[148:149], v[180:181], v[132:133]
	v_mul_f64 v[170:171], v[170:171], s[18:19]
	v_mul_f64 v[172:173], v[172:173], s[18:19]
	;; [unrolled: 1-line block ×6, first 2 shown]
	v_add_f64 v[130:131], v[124:125], v[142:143]
	v_add_f64 v[132:133], v[126:127], v[144:145]
	v_mul_f64 v[186:187], v[134:135], s[20:21]
	v_mul_f64 v[188:189], v[136:137], s[20:21]
	v_fma_f64 v[124:125], v[150:151], s[14:15], v[170:171]
	v_fma_f64 v[126:127], v[168:169], s[14:15], v[172:173]
	v_fma_f64 v[150:151], v[174:175], s[26:27], -v[178:179]
	v_fma_f64 v[168:169], v[176:177], s[26:27], -v[180:181]
	;; [unrolled: 1-line block ×4, first 2 shown]
	v_fma_f64 v[174:175], v[138:139], s[30:31], v[182:183]
	v_fma_f64 v[176:177], v[140:141], s[30:31], v[184:185]
	;; [unrolled: 1-line block ×4, first 2 shown]
	v_fma_f64 v[134:135], v[134:135], s[20:21], -v[182:183]
	v_fma_f64 v[138:139], v[138:139], s[34:35], -v[186:187]
	;; [unrolled: 1-line block ×4, first 2 shown]
	v_fma_f64 v[174:175], v[146:147], s[36:37], v[174:175]
	v_fma_f64 v[176:177], v[148:149], s[36:37], v[176:177]
	v_add_f64 v[124:125], v[124:125], v[142:143]
	v_add_f64 v[126:127], v[126:127], v[144:145]
	v_fma_f64 v[178:179], v[146:147], s[36:37], v[134:135]
	v_fma_f64 v[182:183], v[146:147], s[36:37], v[138:139]
	;; [unrolled: 1-line block ×3, first 2 shown]
	v_add_f64 v[146:147], v[150:151], v[142:143]
	v_add_f64 v[150:151], v[170:171], v[142:143]
	;; [unrolled: 1-line block ×3, first 2 shown]
	v_fma_f64 v[180:181], v[148:149], s[36:37], v[136:137]
	v_add_f64 v[148:149], v[168:169], v[144:145]
	v_add_f64 v[134:135], v[176:177], v[124:125]
	v_add_f64 v[136:137], v[126:127], -v[174:175]
	v_add_co_u32_e32 v172, vcc, s16, v154
	v_add_f64 v[138:139], v[184:185], v[150:151]
	v_add_f64 v[140:141], v[170:171], -v[182:183]
	v_add_f64 v[142:143], v[146:147], -v[180:181]
	v_add_f64 v[144:145], v[178:179], v[148:149]
	v_add_f64 v[146:147], v[180:181], v[146:147]
	v_add_f64 v[148:149], v[148:149], -v[178:179]
	v_addc_co_u32_e32 v173, vcc, 0, v194, vcc
	v_add_f64 v[168:169], v[150:151], -v[184:185]
	v_add_f64 v[170:171], v[182:183], v[170:171]
	v_add_f64 v[124:125], v[124:125], -v[176:177]
	v_add_f64 v[126:127], v[174:175], v[126:127]
	v_add_co_u32_e32 v150, vcc, s33, v154
	v_addc_co_u32_e32 v151, vcc, 0, v194, vcc
	ds_write_b128 v153, v[130:133]
	ds_write_b128 v153, v[134:137] offset:3360
	ds_write_b128 v153, v[138:141] offset:6720
	;; [unrolled: 1-line block ×6, first 2 shown]
	v_add_co_u32_e32 v142, vcc, s38, v154
	v_addc_co_u32_e32 v143, vcc, 0, v194, vcc
	s_waitcnt lgkmcnt(0)
	s_barrier
	global_load_dwordx4 v[130:133], v[172:173], off offset:3040
	global_load_dwordx4 v[134:137], v[128:129], off offset:3360
	v_add_co_u32_e32 v146, vcc, s6, v154
	global_load_dwordx4 v[138:141], v[150:151], off offset:2512
	s_nop 0
	global_load_dwordx4 v[142:145], v[142:143], off offset:1776
	v_addc_co_u32_e32 v147, vcc, 0, v194, vcc
	s_mov_b32 s6, 0xa000
	v_add_co_u32_e32 v150, vcc, s6, v154
	global_load_dwordx4 v[146:149], v[146:147], off offset:1568
	v_addc_co_u32_e32 v151, vcc, 0, v194, vcc
	global_load_dwordx4 v[168:171], v[150:151], off offset:1040
	ds_read_b128 v[172:175], v153
	ds_read_b128 v[176:179], v153 offset:3360
	ds_read_b128 v[180:183], v153 offset:11760
	ds_read_b128 v[184:187], v153 offset:6720
	ds_read_b128 v[188:191], v153 offset:15120
	ds_read_b128 v[192:195], v153 offset:18480
	s_waitcnt vmcnt(5) lgkmcnt(5)
	v_mul_f64 v[150:151], v[174:175], v[132:133]
	v_mul_f64 v[132:133], v[172:173], v[132:133]
	s_waitcnt vmcnt(4) lgkmcnt(4)
	v_mul_f64 v[198:199], v[178:179], v[136:137]
	s_waitcnt vmcnt(3) lgkmcnt(3)
	v_mul_f64 v[196:197], v[182:183], v[140:141]
	v_mul_f64 v[140:141], v[180:181], v[140:141]
	;; [unrolled: 1-line block ×3, first 2 shown]
	s_waitcnt vmcnt(2) lgkmcnt(1)
	v_mul_f64 v[202:203], v[190:191], v[144:145]
	v_mul_f64 v[144:145], v[188:189], v[144:145]
	s_waitcnt vmcnt(1)
	v_mul_f64 v[204:205], v[186:187], v[148:149]
	v_mul_f64 v[206:207], v[184:185], v[148:149]
	v_fma_f64 v[148:149], v[172:173], v[130:131], -v[150:151]
	s_waitcnt vmcnt(0) lgkmcnt(0)
	v_mul_f64 v[208:209], v[194:195], v[170:171]
	v_mul_f64 v[210:211], v[192:193], v[170:171]
	v_fma_f64 v[150:151], v[174:175], v[130:131], v[132:133]
	v_fma_f64 v[130:131], v[180:181], v[138:139], -v[196:197]
	v_fma_f64 v[132:133], v[182:183], v[138:139], v[140:141]
	v_fma_f64 v[136:137], v[176:177], v[134:135], -v[198:199]
	;; [unrolled: 2-line block ×5, first 2 shown]
	v_fma_f64 v[172:173], v[194:195], v[168:169], v[210:211]
	ds_write_b128 v153, v[148:151]
	ds_write_b128 v153, v[130:133] offset:11760
	ds_write_b128 v153, v[136:139] offset:3360
	ds_write_b128 v153, v[140:143] offset:15120
	ds_write_b128 v153, v[144:147] offset:6720
	ds_write_b128 v153, v[170:173] offset:18480
	s_and_saveexec_b64 s[6:7], s[0:1]
	s_cbranch_execz .LBB0_17
; %bb.16:
	v_add_co_u32_e32 v130, vcc, 0x2000, v128
	v_addc_co_u32_e32 v131, vcc, 0, v129, vcc
	v_add_co_u32_e32 v128, vcc, s16, v128
	global_load_dwordx4 v[130:133], v[130:131], off offset:1888
	v_addc_co_u32_e32 v129, vcc, 0, v129, vcc
	global_load_dwordx4 v[134:137], v[128:129], off offset:1360
	ds_read_b128 v[138:141], v153 offset:10080
	ds_read_b128 v[142:145], v153 offset:21840
	s_waitcnt vmcnt(1) lgkmcnt(1)
	v_mul_f64 v[128:129], v[140:141], v[132:133]
	v_mul_f64 v[132:133], v[138:139], v[132:133]
	s_waitcnt vmcnt(0) lgkmcnt(0)
	v_mul_f64 v[146:147], v[144:145], v[136:137]
	v_mul_f64 v[136:137], v[142:143], v[136:137]
	v_fma_f64 v[128:129], v[138:139], v[130:131], -v[128:129]
	v_fma_f64 v[130:131], v[140:141], v[130:131], v[132:133]
	v_fma_f64 v[132:133], v[142:143], v[134:135], -v[146:147]
	v_fma_f64 v[134:135], v[144:145], v[134:135], v[136:137]
	ds_write_b128 v153, v[128:131] offset:10080
	ds_write_b128 v153, v[132:135] offset:21840
.LBB0_17:
	s_or_b64 exec, exec, s[6:7]
	s_waitcnt lgkmcnt(0)
	s_barrier
	ds_read_b128 v[132:135], v153
	ds_read_b128 v[136:139], v153 offset:3360
	ds_read_b128 v[148:151], v153 offset:11760
	;; [unrolled: 1-line block ×5, first 2 shown]
	s_and_saveexec_b64 s[6:7], s[0:1]
	s_cbranch_execz .LBB0_19
; %bb.18:
	ds_read_b128 v[124:127], v153 offset:10080
	ds_read_b128 v[120:123], v153 offset:21840
.LBB0_19:
	s_or_b64 exec, exec, s[6:7]
	s_waitcnt lgkmcnt(3)
	v_add_f64 v[148:149], v[132:133], -v[148:149]
	v_add_f64 v[150:151], v[134:135], -v[150:151]
	s_waitcnt lgkmcnt(0)
	v_add_f64 v[168:169], v[140:141], -v[128:129]
	v_add_f64 v[170:171], v[142:143], -v[130:131]
	;; [unrolled: 1-line block ×6, first 2 shown]
	v_fma_f64 v[132:133], v[132:133], 2.0, -v[148:149]
	v_fma_f64 v[134:135], v[134:135], 2.0, -v[150:151]
	;; [unrolled: 1-line block ×8, first 2 shown]
	s_barrier
	ds_write_b128 v160, v[132:135]
	ds_write_b128 v160, v[148:151] offset:16
	ds_write_b128 v161, v[136:139]
	ds_write_b128 v161, v[144:147] offset:16
	;; [unrolled: 2-line block ×3, first 2 shown]
	s_and_saveexec_b64 s[6:7], s[0:1]
	s_cbranch_execz .LBB0_21
; %bb.20:
	ds_write_b128 v158, v[120:123]
	ds_write_b128 v158, v[128:131] offset:16
.LBB0_21:
	s_or_b64 exec, exec, s[6:7]
	s_waitcnt lgkmcnt(0)
	s_barrier
	ds_read_b128 v[132:135], v153
	ds_read_b128 v[124:127], v153 offset:3360
	ds_read_b128 v[144:147], v153 offset:7840
	;; [unrolled: 1-line block ×5, first 2 shown]
	s_and_saveexec_b64 s[6:7], s[2:3]
	s_cbranch_execz .LBB0_23
; %bb.22:
	ds_read_b128 v[120:123], v153 offset:6720
	ds_read_b128 v[128:131], v153 offset:14560
	;; [unrolled: 1-line block ×3, first 2 shown]
.LBB0_23:
	s_or_b64 exec, exec, s[6:7]
	s_waitcnt lgkmcnt(3)
	v_mul_f64 v[160:161], v[46:47], v[146:147]
	s_waitcnt lgkmcnt(1)
	v_mul_f64 v[168:169], v[42:43], v[150:151]
	v_mul_f64 v[170:171], v[46:47], v[144:145]
	;; [unrolled: 1-line block ×5, first 2 shown]
	s_waitcnt lgkmcnt(0)
	v_mul_f64 v[178:179], v[42:43], v[142:143]
	v_mul_f64 v[180:181], v[42:43], v[118:119]
	v_fma_f64 v[144:145], v[44:45], v[144:145], v[160:161]
	v_fma_f64 v[148:149], v[40:41], v[148:149], v[168:169]
	v_mul_f64 v[160:161], v[42:43], v[140:141]
	v_mul_f64 v[168:169], v[46:47], v[130:131]
	;; [unrolled: 1-line block ×4, first 2 shown]
	v_fma_f64 v[146:147], v[44:45], v[146:147], -v[170:171]
	v_fma_f64 v[150:151], v[40:41], v[150:151], -v[172:173]
	v_fma_f64 v[172:173], v[44:45], v[136:137], v[174:175]
	v_add_f64 v[170:171], v[144:145], v[148:149]
	v_fma_f64 v[174:175], v[44:45], v[138:139], -v[176:177]
	v_fma_f64 v[176:177], v[40:41], v[140:141], v[178:179]
	v_fma_f64 v[142:143], v[40:41], v[142:143], -v[160:161]
	v_add_f64 v[136:137], v[132:133], v[144:145]
	v_fma_f64 v[160:161], v[44:45], v[128:129], v[168:169]
	v_fma_f64 v[44:45], v[44:45], v[130:131], -v[46:47]
	v_add_f64 v[130:131], v[146:147], -v[150:151]
	v_fma_f64 v[46:47], v[170:171], -0.5, v[132:133]
	v_fma_f64 v[116:117], v[40:41], v[116:117], v[180:181]
	v_add_f64 v[138:139], v[146:147], v[150:151]
	v_fma_f64 v[118:119], v[40:41], v[118:119], -v[42:43]
	v_add_f64 v[40:41], v[172:173], v[176:177]
	v_add_f64 v[42:43], v[134:135], v[146:147]
	v_add_f64 v[140:141], v[144:145], -v[148:149]
	v_add_f64 v[144:145], v[124:125], v[172:173]
	s_mov_b32 s6, 0xe8584caa
	s_mov_b32 s7, 0xbfebb67a
	;; [unrolled: 1-line block ×4, first 2 shown]
	v_add_f64 v[128:129], v[136:137], v[148:149]
	v_fma_f64 v[132:133], v[130:131], s[6:7], v[46:47]
	v_fma_f64 v[138:139], v[138:139], -0.5, v[134:135]
	v_fma_f64 v[40:41], v[40:41], -0.5, v[124:125]
	v_add_f64 v[146:147], v[174:175], -v[142:143]
	v_fma_f64 v[136:137], v[130:131], s[14:15], v[46:47]
	v_add_f64 v[130:131], v[42:43], v[150:151]
	v_add_f64 v[42:43], v[174:175], v[142:143]
	;; [unrolled: 1-line block ×5, first 2 shown]
	v_fma_f64 v[134:135], v[140:141], s[14:15], v[138:139]
	v_fma_f64 v[138:139], v[140:141], s[6:7], v[138:139]
	;; [unrolled: 1-line block ×4, first 2 shown]
	v_add_f64 v[146:147], v[126:127], v[174:175]
	v_fma_f64 v[42:43], v[42:43], -0.5, v[126:127]
	v_add_f64 v[148:149], v[172:173], -v[176:177]
	v_add_f64 v[150:151], v[120:121], v[160:161]
	v_fma_f64 v[46:47], v[46:47], -0.5, v[120:121]
	v_add_f64 v[120:121], v[44:45], -v[118:119]
	;; [unrolled: 3-line block ×3, first 2 shown]
	v_add_f64 v[126:127], v[146:147], v[142:143]
	v_fma_f64 v[142:143], v[148:149], s[14:15], v[42:43]
	v_fma_f64 v[42:43], v[148:149], s[6:7], v[42:43]
	v_add_f64 v[44:45], v[150:151], v[116:117]
	v_fma_f64 v[116:117], v[120:121], s[6:7], v[46:47]
	v_fma_f64 v[120:121], v[120:121], s[14:15], v[46:47]
	;; [unrolled: 3-line block ×3, first 2 shown]
	s_barrier
	ds_write_b128 v163, v[128:131]
	ds_write_b128 v163, v[132:135] offset:32
	ds_write_b128 v163, v[136:139] offset:64
	ds_write_b128 v159, v[124:127]
	ds_write_b128 v159, v[140:143] offset:32
	ds_write_b128 v159, v[40:43] offset:64
	s_and_saveexec_b64 s[6:7], s[2:3]
	s_cbranch_execz .LBB0_25
; %bb.24:
	v_mul_u32_u24_e32 v124, 6, v164
	v_or_b32_e32 v124, v124, v157
	v_lshlrev_b32_e32 v124, 4, v124
	ds_write_b128 v124, v[44:47]
	ds_write_b128 v124, v[116:119] offset:32
	ds_write_b128 v124, v[120:123] offset:64
.LBB0_25:
	s_or_b64 exec, exec, s[6:7]
	s_waitcnt lgkmcnt(0)
	s_barrier
	ds_read_b128 v[124:127], v153
	ds_read_b128 v[140:143], v153 offset:4704
	ds_read_b128 v[128:131], v153 offset:9408
	;; [unrolled: 1-line block ×4, first 2 shown]
	s_and_saveexec_b64 s[2:3], s[4:5]
	s_cbranch_execz .LBB0_27
; %bb.26:
	ds_read_b128 v[40:43], v153 offset:3360
	ds_read_b128 v[44:47], v153 offset:8064
	;; [unrolled: 1-line block ×5, first 2 shown]
.LBB0_27:
	s_or_b64 exec, exec, s[2:3]
	s_waitcnt lgkmcnt(2)
	v_mul_f64 v[144:145], v[58:59], v[130:131]
	s_waitcnt lgkmcnt(1)
	v_mul_f64 v[146:147], v[54:55], v[134:135]
	v_mul_f64 v[148:149], v[62:63], v[142:143]
	;; [unrolled: 1-line block ×4, first 2 shown]
	s_waitcnt lgkmcnt(0)
	v_mul_f64 v[150:151], v[50:51], v[136:137]
	v_mul_f64 v[54:55], v[54:55], v[132:133]
	v_mul_f64 v[50:51], v[50:51], v[138:139]
	v_fma_f64 v[128:129], v[56:57], v[128:129], v[144:145]
	v_fma_f64 v[144:145], v[52:53], v[132:133], v[146:147]
	;; [unrolled: 1-line block ×3, first 2 shown]
	v_fma_f64 v[60:61], v[60:61], v[142:143], -v[62:63]
	v_fma_f64 v[56:57], v[56:57], v[130:131], -v[58:59]
	;; [unrolled: 1-line block ×4, first 2 shown]
	v_fma_f64 v[50:51], v[48:49], v[136:137], v[50:51]
	s_mov_b32 s2, 0x134454ff
	v_add_f64 v[138:139], v[128:129], v[144:145]
	v_add_f64 v[48:49], v[124:125], v[132:133]
	s_mov_b32 s3, 0xbfee6f0e
	v_add_f64 v[134:135], v[132:133], -v[128:129]
	v_add_f64 v[58:59], v[60:61], -v[62:63]
	;; [unrolled: 1-line block ×4, first 2 shown]
	s_mov_b32 s6, 0x4755a5e
	v_fma_f64 v[52:53], v[138:139], -0.5, v[124:125]
	v_add_f64 v[138:139], v[132:133], v[50:51]
	v_add_f64 v[48:49], v[48:49], v[128:129]
	s_mov_b32 s7, 0xbfe2cf23
	v_add_f64 v[150:151], v[60:61], v[62:63]
	s_mov_b32 s14, 0x372fe950
	;; [unrolled: 2-line block ×3, first 2 shown]
	v_fma_f64 v[140:141], v[58:59], s[2:3], v[52:53]
	v_fma_f64 v[124:125], v[138:139], -0.5, v[124:125]
	v_add_f64 v[48:49], v[48:49], v[144:145]
	v_add_f64 v[138:139], v[56:57], v[54:55]
	s_mov_b32 s16, s2
	s_mov_b32 s15, 0x3fd3c6ef
	v_fma_f64 v[146:147], v[58:59], s[16:17], v[52:53]
	v_add_f64 v[148:149], v[126:127], v[60:61]
	v_fma_f64 v[136:137], v[130:131], s[6:7], v[140:141]
	v_add_f64 v[142:143], v[128:129], -v[132:133]
	v_add_f64 v[140:141], v[144:145], -v[50:51]
	v_add_f64 v[48:49], v[48:49], v[50:51]
	v_add_f64 v[50:51], v[132:133], -v[50:51]
	v_add_f64 v[128:129], v[128:129], -v[144:145]
	s_mov_b32 s19, 0x3fe2cf23
	s_mov_b32 s18, s6
	v_fma_f64 v[52:53], v[134:135], s[14:15], v[136:137]
	v_fma_f64 v[136:137], v[138:139], -0.5, v[126:127]
	v_fma_f64 v[126:127], v[150:151], -0.5, v[126:127]
	v_fma_f64 v[157:158], v[130:131], s[16:17], v[124:125]
	v_fma_f64 v[132:133], v[130:131], s[18:19], v[146:147]
	;; [unrolled: 1-line block ×3, first 2 shown]
	v_add_f64 v[130:131], v[148:149], v[56:57]
	v_add_f64 v[140:141], v[142:143], v[140:141]
	v_add_f64 v[144:145], v[60:61], -v[56:57]
	v_fma_f64 v[142:143], v[50:51], s[16:17], v[136:137]
	v_add_f64 v[146:147], v[62:63], -v[54:55]
	v_fma_f64 v[148:149], v[128:129], s[2:3], v[126:127]
	v_add_f64 v[56:57], v[56:57], -v[60:61]
	v_add_f64 v[60:61], v[54:55], -v[62:63]
	v_fma_f64 v[126:127], v[128:129], s[16:17], v[126:127]
	v_fma_f64 v[136:137], v[50:51], s[2:3], v[136:137]
	v_add_f64 v[54:55], v[130:131], v[54:55]
	v_fma_f64 v[130:131], v[128:129], s[18:19], v[142:143]
	v_add_f64 v[142:143], v[144:145], v[146:147]
	v_fma_f64 v[138:139], v[58:59], s[6:7], v[157:158]
	v_fma_f64 v[144:145], v[50:51], s[18:19], v[148:149]
	v_add_f64 v[146:147], v[56:57], v[60:61]
	v_fma_f64 v[58:59], v[58:59], s[18:19], v[124:125]
	v_fma_f64 v[126:127], v[50:51], s[6:7], v[126:127]
	v_fma_f64 v[128:129], v[128:129], s[6:7], v[136:137]
	v_add_f64 v[50:51], v[54:55], v[62:63]
	v_fma_f64 v[54:55], v[142:143], s[14:15], v[130:131]
	v_fma_f64 v[60:61], v[140:141], s[14:15], v[138:139]
	;; [unrolled: 1-line block ×7, first 2 shown]
	s_barrier
	ds_write_b128 v167, v[48:51]
	ds_write_b128 v167, v[52:55] offset:96
	ds_write_b128 v167, v[60:63] offset:192
	;; [unrolled: 1-line block ×4, first 2 shown]
	s_and_saveexec_b64 s[20:21], s[4:5]
	s_cbranch_execz .LBB0_29
; %bb.28:
	v_mul_f64 v[50:51], v[26:27], v[44:45]
	v_mul_f64 v[52:53], v[30:31], v[88:89]
	;; [unrolled: 1-line block ×8, first 2 shown]
	v_fma_f64 v[46:47], v[24:25], v[46:47], -v[50:51]
	v_fma_f64 v[50:51], v[28:29], v[90:91], -v[52:53]
	;; [unrolled: 1-line block ×4, first 2 shown]
	v_fma_f64 v[36:37], v[36:37], v[116:117], v[38:39]
	v_fma_f64 v[32:33], v[32:33], v[120:121], v[34:35]
	;; [unrolled: 1-line block ×4, first 2 shown]
	v_add_f64 v[60:61], v[42:43], v[46:47]
	v_add_f64 v[26:27], v[46:47], v[50:51]
	v_add_f64 v[30:31], v[48:49], -v[46:47]
	v_add_f64 v[54:55], v[48:49], v[52:53]
	v_add_f64 v[34:35], v[52:53], -v[50:51]
	v_add_f64 v[38:39], v[36:37], -v[32:33]
	v_add_f64 v[118:119], v[36:37], v[32:33]
	v_add_f64 v[44:45], v[24:25], -v[28:29]
	v_add_f64 v[120:121], v[40:41], v[24:25]
	v_fma_f64 v[26:27], v[26:27], -0.5, v[42:43]
	v_add_f64 v[56:57], v[46:47], -v[48:49]
	v_fma_f64 v[42:43], v[54:55], -0.5, v[42:43]
	v_add_f64 v[54:55], v[24:25], v[28:29]
	v_add_f64 v[30:31], v[30:31], v[34:35]
	v_add_f64 v[46:47], v[46:47], -v[50:51]
	v_add_f64 v[58:59], v[50:51], -v[52:53]
	v_add_f64 v[116:117], v[48:49], -v[52:53]
	v_fma_f64 v[90:91], v[38:39], s[16:17], v[26:27]
	v_fma_f64 v[26:27], v[38:39], s[2:3], v[26:27]
	;; [unrolled: 1-line block ×4, first 2 shown]
	v_fma_f64 v[54:55], v[54:55], -0.5, v[40:41]
	v_fma_f64 v[40:41], v[118:119], -0.5, v[40:41]
	v_add_f64 v[62:63], v[36:37], -v[24:25]
	v_add_f64 v[48:49], v[60:61], v[48:49]
	v_fma_f64 v[90:91], v[44:45], s[6:7], v[90:91]
	v_fma_f64 v[44:45], v[44:45], s[18:19], v[26:27]
	;; [unrolled: 1-line block ×4, first 2 shown]
	v_add_f64 v[24:25], v[24:25], -v[36:37]
	v_add_f64 v[42:43], v[28:29], -v[32:33]
	v_add_f64 v[36:37], v[120:121], v[36:37]
	v_add_f64 v[88:89], v[32:33], -v[28:29]
	v_fma_f64 v[26:27], v[30:31], s[14:15], v[90:91]
	v_fma_f64 v[30:31], v[30:31], s[14:15], v[44:45]
	;; [unrolled: 1-line block ×3, first 2 shown]
	v_add_f64 v[56:57], v[56:57], v[58:59]
	v_fma_f64 v[58:59], v[116:117], s[16:17], v[54:55]
	v_fma_f64 v[54:55], v[116:117], s[2:3], v[54:55]
	v_fma_f64 v[40:41], v[46:47], s[16:17], v[40:41]
	v_add_f64 v[48:49], v[48:49], v[52:53]
	v_add_f64 v[60:61], v[24:25], v[42:43]
	;; [unrolled: 1-line block ×3, first 2 shown]
	v_fma_f64 v[32:33], v[116:117], s[6:7], v[44:45]
	v_add_f64 v[52:53], v[62:63], v[88:89]
	v_fma_f64 v[44:45], v[46:47], s[6:7], v[58:59]
	v_fma_f64 v[46:47], v[46:47], s[18:19], v[54:55]
	;; [unrolled: 1-line block ×3, first 2 shown]
	v_add_f64 v[42:43], v[48:49], v[50:51]
	v_fma_f64 v[38:39], v[56:57], s[14:15], v[38:39]
	v_add_f64 v[40:41], v[24:25], v[28:29]
	v_fma_f64 v[36:37], v[60:61], s[14:15], v[32:33]
	v_fma_f64 v[34:35], v[56:57], s[14:15], v[34:35]
	;; [unrolled: 1-line block ×5, first 2 shown]
	v_lshlrev_b32_e32 v44, 4, v165
	ds_write_b128 v44, v[40:43]
	ds_write_b128 v44, v[36:39] offset:96
	ds_write_b128 v44, v[28:31] offset:192
	ds_write_b128 v44, v[24:27] offset:288
	ds_write_b128 v44, v[32:35] offset:384
.LBB0_29:
	s_or_b64 exec, exec, s[20:21]
	s_waitcnt lgkmcnt(0)
	s_barrier
	ds_read_b128 v[24:27], v153 offset:3360
	ds_read_b128 v[28:31], v153 offset:6720
	;; [unrolled: 1-line block ×3, first 2 shown]
	ds_read_b128 v[36:39], v153
	ds_read_b128 v[40:43], v153 offset:13440
	ds_read_b128 v[44:47], v153 offset:16800
	;; [unrolled: 1-line block ×3, first 2 shown]
	s_mov_b32 s4, 0x37e14327
	s_waitcnt lgkmcnt(6)
	v_mul_f64 v[52:53], v[78:79], v[26:27]
	v_mul_f64 v[54:55], v[78:79], v[24:25]
	s_waitcnt lgkmcnt(5)
	v_mul_f64 v[56:57], v[74:75], v[30:31]
	v_mul_f64 v[58:59], v[74:75], v[28:29]
	;; [unrolled: 3-line block ×3, first 2 shown]
	s_mov_b32 s2, 0x36b3c0b5
	s_mov_b32 s14, 0xe976ee23
	v_fma_f64 v[24:25], v[76:77], v[24:25], v[52:53]
	v_fma_f64 v[26:27], v[76:77], v[26:27], -v[54:55]
	s_waitcnt lgkmcnt(0)
	v_mul_f64 v[52:53], v[82:83], v[50:51]
	v_mul_f64 v[54:55], v[82:83], v[48:49]
	v_fma_f64 v[28:29], v[72:73], v[28:29], v[56:57]
	v_fma_f64 v[30:31], v[72:73], v[30:31], -v[58:59]
	v_mul_f64 v[56:57], v[70:71], v[34:35]
	v_mul_f64 v[58:59], v[70:71], v[32:33]
	;; [unrolled: 1-line block ×4, first 2 shown]
	v_fma_f64 v[48:49], v[80:81], v[48:49], v[52:53]
	v_fma_f64 v[50:51], v[80:81], v[50:51], -v[54:55]
	v_fma_f64 v[44:45], v[84:85], v[44:45], v[60:61]
	v_fma_f64 v[46:47], v[84:85], v[46:47], -v[62:63]
	;; [unrolled: 2-line block ×4, first 2 shown]
	v_add_f64 v[52:53], v[24:25], v[48:49]
	v_add_f64 v[54:55], v[26:27], v[50:51]
	v_add_f64 v[24:25], v[24:25], -v[48:49]
	v_add_f64 v[26:27], v[26:27], -v[50:51]
	v_add_f64 v[48:49], v[28:29], v[44:45]
	v_add_f64 v[50:51], v[30:31], v[46:47]
	v_add_f64 v[28:29], v[28:29], -v[44:45]
	v_add_f64 v[30:31], v[30:31], -v[46:47]
	;; [unrolled: 4-line block ×4, first 2 shown]
	v_add_f64 v[52:53], v[52:53], -v[44:45]
	v_add_f64 v[54:55], v[54:55], -v[46:47]
	;; [unrolled: 1-line block ×4, first 2 shown]
	v_add_f64 v[60:61], v[32:33], v[28:29]
	v_add_f64 v[62:63], v[34:35], v[30:31]
	v_add_f64 v[64:65], v[32:33], -v[28:29]
	v_add_f64 v[66:67], v[34:35], -v[30:31]
	v_add_f64 v[40:41], v[44:45], v[40:41]
	v_add_f64 v[42:43], v[46:47], v[42:43]
	v_add_f64 v[28:29], v[28:29], -v[24:25]
	v_add_f64 v[30:31], v[30:31], -v[26:27]
	s_mov_b32 s5, 0x3fe948f6
	s_mov_b32 s3, 0x3fac98ee
	;; [unrolled: 1-line block ×4, first 2 shown]
	v_add_f64 v[32:33], v[24:25], -v[32:33]
	v_add_f64 v[34:35], v[26:27], -v[34:35]
	v_add_f64 v[44:45], v[60:61], v[24:25]
	v_add_f64 v[46:47], v[62:63], v[26:27]
	;; [unrolled: 1-line block ×4, first 2 shown]
	v_mul_f64 v[36:37], v[52:53], s[4:5]
	v_mul_f64 v[38:39], v[54:55], s[4:5]
	;; [unrolled: 1-line block ×6, first 2 shown]
	s_mov_b32 s7, 0xbfebfeb5
	v_mul_f64 v[64:65], v[28:29], s[6:7]
	v_mul_f64 v[66:67], v[30:31], s[6:7]
	s_mov_b32 s16, 0xaaaaaaaa
	s_mov_b32 s18, 0x5476071b
	s_mov_b32 s22, 0xb247c609
	s_mov_b32 s17, 0xbff2aaaa
	s_mov_b32 s19, 0x3fe77f67
	s_mov_b32 s21, 0xbfe77f67
	s_mov_b32 s20, s18
	s_mov_b32 s23, 0xbfd5d0dc
	v_fma_f64 v[40:41], v[40:41], s[16:17], v[24:25]
	v_fma_f64 v[42:43], v[42:43], s[16:17], v[26:27]
	v_fma_f64 v[48:49], v[48:49], s[2:3], v[36:37]
	v_fma_f64 v[50:51], v[50:51], s[2:3], v[38:39]
	v_fma_f64 v[52:53], v[56:57], s[18:19], -v[52:53]
	v_fma_f64 v[54:55], v[58:59], s[18:19], -v[54:55]
	v_fma_f64 v[36:37], v[56:57], s[20:21], -v[36:37]
	v_fma_f64 v[38:39], v[58:59], s[20:21], -v[38:39]
	v_fma_f64 v[56:57], v[32:33], s[22:23], v[60:61]
	v_fma_f64 v[58:59], v[34:35], s[22:23], v[62:63]
	s_mov_b32 s27, 0x3fd5d0dc
	s_mov_b32 s26, s22
	v_fma_f64 v[32:33], v[32:33], s[26:27], -v[64:65]
	v_fma_f64 v[34:35], v[34:35], s[26:27], -v[66:67]
	;; [unrolled: 1-line block ×4, first 2 shown]
	s_mov_b32 s24, 0x37c3f68c
	s_mov_b32 s25, 0xbfdc38aa
	v_add_f64 v[48:49], v[48:49], v[40:41]
	v_add_f64 v[50:51], v[50:51], v[42:43]
	v_fma_f64 v[58:59], v[46:47], s[24:25], v[58:59]
	v_fma_f64 v[56:57], v[44:45], s[24:25], v[56:57]
	v_add_f64 v[60:61], v[36:37], v[40:41]
	v_add_f64 v[62:63], v[38:39], v[42:43]
	v_fma_f64 v[64:65], v[46:47], s[24:25], v[34:35]
	v_fma_f64 v[66:67], v[44:45], s[24:25], v[32:33]
	;; [unrolled: 4-line block ×3, first 2 shown]
	v_add_f64 v[28:29], v[58:59], v[48:49]
	v_add_f64 v[30:31], v[50:51], -v[56:57]
	v_add_f64 v[32:33], v[64:65], v[60:61]
	v_add_f64 v[34:35], v[62:63], -v[66:67]
	v_add_f64 v[44:45], v[60:61], -v[64:65]
	v_add_f64 v[46:47], v[66:67], v[62:63]
	v_add_f64 v[36:37], v[52:53], -v[40:41]
	v_add_f64 v[38:39], v[42:43], v[54:55]
	v_add_f64 v[40:41], v[40:41], v[52:53]
	v_add_f64 v[42:43], v[54:55], -v[42:43]
	v_add_f64 v[48:49], v[48:49], -v[58:59]
	v_add_f64 v[50:51], v[56:57], v[50:51]
	s_barrier
	ds_write_b128 v166, v[24:27]
	ds_write_b128 v166, v[28:31] offset:480
	ds_write_b128 v166, v[32:35] offset:960
	;; [unrolled: 1-line block ×6, first 2 shown]
	s_waitcnt lgkmcnt(0)
	s_barrier
	ds_read_b128 v[24:27], v153 offset:3360
	ds_read_b128 v[28:31], v153 offset:6720
	;; [unrolled: 1-line block ×3, first 2 shown]
	ds_read_b128 v[36:39], v153
	ds_read_b128 v[40:43], v153 offset:13440
	ds_read_b128 v[44:47], v153 offset:16800
	;; [unrolled: 1-line block ×3, first 2 shown]
	s_waitcnt lgkmcnt(6)
	v_mul_f64 v[52:53], v[106:107], v[26:27]
	v_mul_f64 v[54:55], v[106:107], v[24:25]
	s_waitcnt lgkmcnt(5)
	v_mul_f64 v[56:57], v[102:103], v[30:31]
	v_mul_f64 v[58:59], v[102:103], v[28:29]
	;; [unrolled: 3-line block ×3, first 2 shown]
	v_mul_f64 v[64:65], v[94:95], v[42:43]
	v_mul_f64 v[66:67], v[94:95], v[40:41]
	v_fma_f64 v[24:25], v[104:105], v[24:25], v[52:53]
	v_fma_f64 v[26:27], v[104:105], v[26:27], -v[54:55]
	s_waitcnt lgkmcnt(0)
	v_mul_f64 v[52:53], v[110:111], v[50:51]
	v_mul_f64 v[54:55], v[110:111], v[48:49]
	v_fma_f64 v[28:29], v[100:101], v[28:29], v[56:57]
	v_fma_f64 v[30:31], v[100:101], v[30:31], -v[58:59]
	v_mul_f64 v[56:57], v[98:99], v[34:35]
	v_mul_f64 v[58:59], v[98:99], v[32:33]
	v_fma_f64 v[44:45], v[112:113], v[44:45], v[60:61]
	v_fma_f64 v[46:47], v[112:113], v[46:47], -v[62:63]
	v_fma_f64 v[48:49], v[108:109], v[48:49], v[52:53]
	v_fma_f64 v[50:51], v[108:109], v[50:51], -v[54:55]
	;; [unrolled: 2-line block ×4, first 2 shown]
	v_add_f64 v[52:53], v[24:25], v[48:49]
	v_add_f64 v[54:55], v[26:27], v[50:51]
	v_add_f64 v[24:25], v[24:25], -v[48:49]
	v_add_f64 v[26:27], v[26:27], -v[50:51]
	v_add_f64 v[48:49], v[28:29], v[44:45]
	v_add_f64 v[50:51], v[30:31], v[46:47]
	v_add_f64 v[28:29], v[28:29], -v[44:45]
	v_add_f64 v[30:31], v[30:31], -v[46:47]
	;; [unrolled: 4-line block ×4, first 2 shown]
	v_add_f64 v[52:53], v[52:53], -v[44:45]
	v_add_f64 v[54:55], v[54:55], -v[46:47]
	;; [unrolled: 1-line block ×4, first 2 shown]
	v_add_f64 v[60:61], v[32:33], v[28:29]
	v_add_f64 v[62:63], v[34:35], v[30:31]
	v_add_f64 v[64:65], v[32:33], -v[28:29]
	v_add_f64 v[66:67], v[34:35], -v[30:31]
	v_add_f64 v[40:41], v[44:45], v[40:41]
	v_add_f64 v[42:43], v[46:47], v[42:43]
	v_add_f64 v[28:29], v[28:29], -v[24:25]
	v_add_f64 v[30:31], v[30:31], -v[26:27]
	;; [unrolled: 1-line block ×4, first 2 shown]
	v_add_f64 v[44:45], v[60:61], v[24:25]
	v_add_f64 v[46:47], v[62:63], v[26:27]
	;; [unrolled: 1-line block ×4, first 2 shown]
	v_mul_f64 v[36:37], v[52:53], s[4:5]
	v_mul_f64 v[38:39], v[54:55], s[4:5]
	;; [unrolled: 1-line block ×8, first 2 shown]
	v_fma_f64 v[40:41], v[40:41], s[16:17], v[24:25]
	v_fma_f64 v[42:43], v[42:43], s[16:17], v[26:27]
	;; [unrolled: 1-line block ×4, first 2 shown]
	v_fma_f64 v[52:53], v[56:57], s[18:19], -v[52:53]
	v_fma_f64 v[54:55], v[58:59], s[18:19], -v[54:55]
	;; [unrolled: 1-line block ×4, first 2 shown]
	v_fma_f64 v[56:57], v[32:33], s[22:23], v[60:61]
	v_fma_f64 v[58:59], v[34:35], s[22:23], v[62:63]
	v_fma_f64 v[32:33], v[32:33], s[26:27], -v[64:65]
	v_fma_f64 v[34:35], v[34:35], s[26:27], -v[66:67]
	;; [unrolled: 1-line block ×4, first 2 shown]
	v_add_f64 v[48:49], v[48:49], v[40:41]
	v_add_f64 v[50:51], v[50:51], v[42:43]
	v_fma_f64 v[56:57], v[44:45], s[24:25], v[56:57]
	v_fma_f64 v[58:59], v[46:47], s[24:25], v[58:59]
	v_add_f64 v[60:61], v[36:37], v[40:41]
	v_add_f64 v[62:63], v[38:39], v[42:43]
	v_fma_f64 v[64:65], v[46:47], s[24:25], v[34:35]
	v_fma_f64 v[66:67], v[44:45], s[24:25], v[32:33]
	;; [unrolled: 4-line block ×3, first 2 shown]
	v_add_f64 v[28:29], v[58:59], v[48:49]
	v_add_f64 v[30:31], v[50:51], -v[56:57]
	v_add_f64 v[32:33], v[64:65], v[60:61]
	v_add_f64 v[34:35], v[62:63], -v[66:67]
	v_add_f64 v[44:45], v[60:61], -v[64:65]
	v_add_f64 v[46:47], v[66:67], v[62:63]
	v_add_f64 v[36:37], v[52:53], -v[40:41]
	v_add_f64 v[38:39], v[42:43], v[54:55]
	v_add_f64 v[40:41], v[40:41], v[52:53]
	v_add_f64 v[42:43], v[54:55], -v[42:43]
	v_add_f64 v[48:49], v[48:49], -v[58:59]
	v_add_f64 v[50:51], v[56:57], v[50:51]
	ds_write_b128 v153, v[24:27]
	ds_write_b128 v153, v[28:31] offset:3360
	ds_write_b128 v153, v[32:35] offset:6720
	ds_write_b128 v153, v[36:39] offset:10080
	ds_write_b128 v153, v[40:43] offset:13440
	ds_write_b128 v153, v[44:47] offset:16800
	ds_write_b128 v153, v[48:51] offset:20160
	s_waitcnt lgkmcnt(0)
	s_barrier
	ds_read_b128 v[24:27], v153
	ds_read_b128 v[28:31], v153 offset:3360
	v_mad_u64_u32 v[52:53], s[2:3], s10, v152, 0
	v_mov_b32_e32 v42, s13
	s_waitcnt lgkmcnt(1)
	v_mul_f64 v[33:34], v[22:23], v[26:27]
	v_mul_f64 v[22:23], v[22:23], v[24:25]
	v_mov_b32_e32 v32, v53
	s_mul_hi_u32 s7, s8, 0xfffffdf3
	s_mul_i32 s6, s9, 0xfffffdf3
	s_sub_i32 s7, s7, s8
	s_add_i32 s7, s7, s6
	s_mul_i32 s6, s8, 0xfffffdf3
	v_mad_u64_u32 v[35:36], s[2:3], s11, v152, v[32:33]
	v_mad_u64_u32 v[36:37], s[2:3], s8, v156, 0
	v_fma_f64 v[24:25], v[20:21], v[24:25], v[33:34]
	v_fma_f64 v[26:27], v[20:21], v[26:27], -v[22:23]
	v_mov_b32_e32 v20, v37
	v_mad_u64_u32 v[32:33], s[4:5], s9, v156, v[20:21]
	ds_read_b128 v[20:23], v153 offset:11760
	v_mov_b32_e32 v53, v35
	v_mov_b32_e32 v37, v32
	ds_read_b128 v[32:35], v153 offset:6720
	v_lshlrev_b64 v[40:41], 4, v[52:53]
	s_waitcnt lgkmcnt(1)
	v_mul_f64 v[38:39], v[2:3], v[22:23]
	v_mul_f64 v[2:3], v[2:3], v[20:21]
	v_add_co_u32_e32 v40, vcc, s12, v40
	s_mov_b32 s2, 0x3adcd25f
	v_addc_co_u32_e32 v41, vcc, v42, v41, vcc
	s_mov_b32 s3, 0x3f464a89
	v_fma_f64 v[20:21], v[0:1], v[20:21], v[38:39]
	v_fma_f64 v[2:3], v[0:1], v[22:23], -v[2:3]
	v_lshlrev_b64 v[0:1], 4, v[36:37]
	v_mul_f64 v[24:25], v[24:25], s[2:3]
	v_add_co_u32_e32 v22, vcc, v40, v0
	v_addc_co_u32_e32 v23, vcc, v41, v1, vcc
	v_mul_f64 v[0:1], v[20:21], s[2:3]
	v_mul_f64 v[20:21], v[6:7], v[30:31]
	v_mul_f64 v[26:27], v[26:27], s[2:3]
	v_mul_f64 v[2:3], v[2:3], s[2:3]
	s_mul_i32 s4, s9, 0x2df
	s_mul_hi_u32 s5, s8, 0x2df
	s_add_i32 s5, s5, s4
	s_mul_i32 s4, s8, 0x2df
	v_mul_f64 v[6:7], v[6:7], v[28:29]
	s_lshl_b64 s[4:5], s[4:5], 4
	v_fma_f64 v[20:21], v[4:5], v[28:29], v[20:21]
	global_store_dwordx4 v[22:23], v[24:27], off
	v_mov_b32_e32 v36, s5
	v_add_co_u32_e32 v24, vcc, s4, v22
	v_addc_co_u32_e32 v25, vcc, v23, v36, vcc
	global_store_dwordx4 v[24:25], v[0:3], off
	ds_read_b128 v[0:3], v153 offset:15120
	v_fma_f64 v[6:7], v[4:5], v[30:31], -v[6:7]
	v_mul_f64 v[4:5], v[20:21], s[2:3]
	ds_read_b128 v[20:23], v153 offset:18480
	s_lshl_b64 s[6:7], s[6:7], 4
	s_waitcnt lgkmcnt(1)
	v_mul_f64 v[26:27], v[10:11], v[2:3]
	v_mul_f64 v[10:11], v[10:11], v[0:1]
	v_mov_b32_e32 v28, s7
	v_add_co_u32_e32 v24, vcc, s6, v24
	v_mul_f64 v[6:7], v[6:7], s[2:3]
	v_addc_co_u32_e32 v25, vcc, v25, v28, vcc
	v_fma_f64 v[0:1], v[8:9], v[0:1], v[26:27]
	v_fma_f64 v[2:3], v[8:9], v[2:3], -v[10:11]
	v_mul_f64 v[8:9], v[14:15], v[34:35]
	v_mul_f64 v[10:11], v[14:15], v[32:33]
	s_waitcnt lgkmcnt(0)
	v_mul_f64 v[14:15], v[18:19], v[22:23]
	v_mul_f64 v[18:19], v[18:19], v[20:21]
	global_store_dwordx4 v[24:25], v[4:7], off
	v_mul_f64 v[0:1], v[0:1], s[2:3]
	v_mul_f64 v[2:3], v[2:3], s[2:3]
	v_fma_f64 v[4:5], v[12:13], v[32:33], v[8:9]
	v_fma_f64 v[6:7], v[12:13], v[34:35], -v[10:11]
	v_fma_f64 v[8:9], v[16:17], v[20:21], v[14:15]
	v_fma_f64 v[10:11], v[16:17], v[22:23], -v[18:19]
	v_add_co_u32_e32 v12, vcc, s4, v24
	v_addc_co_u32_e32 v13, vcc, v25, v36, vcc
	v_mul_f64 v[4:5], v[4:5], s[2:3]
	v_mul_f64 v[6:7], v[6:7], s[2:3]
	;; [unrolled: 1-line block ×4, first 2 shown]
	global_store_dwordx4 v[12:13], v[0:3], off
	s_nop 0
	v_add_co_u32_e32 v0, vcc, s6, v12
	v_addc_co_u32_e32 v1, vcc, v13, v28, vcc
	global_store_dwordx4 v[0:1], v[4:7], off
	v_add_co_u32_e32 v0, vcc, s4, v0
	v_addc_co_u32_e32 v1, vcc, v1, v36, vcc
	global_store_dwordx4 v[0:1], v[8:11], off
	s_and_b64 exec, exec, s[0:1]
	s_cbranch_execz .LBB0_31
; %bb.30:
	v_add_co_u32_e32 v2, vcc, 0x2000, v154
	v_addc_co_u32_e32 v3, vcc, 0, v155, vcc
	s_movk_i32 s0, 0x5000
	v_add_co_u32_e32 v6, vcc, s0, v154
	global_load_dwordx4 v[2:5], v[2:3], off offset:1888
	v_addc_co_u32_e32 v7, vcc, 0, v155, vcc
	global_load_dwordx4 v[6:9], v[6:7], off offset:1360
	ds_read_b128 v[10:13], v153 offset:10080
	ds_read_b128 v[14:17], v153 offset:21840
	v_add_co_u32_e32 v0, vcc, s6, v0
	s_waitcnt vmcnt(1) lgkmcnt(1)
	v_mul_f64 v[18:19], v[12:13], v[4:5]
	v_mul_f64 v[4:5], v[10:11], v[4:5]
	s_waitcnt vmcnt(0) lgkmcnt(0)
	v_mul_f64 v[20:21], v[16:17], v[8:9]
	v_mul_f64 v[8:9], v[14:15], v[8:9]
	v_fma_f64 v[10:11], v[10:11], v[2:3], v[18:19]
	v_fma_f64 v[4:5], v[2:3], v[12:13], -v[4:5]
	v_fma_f64 v[12:13], v[14:15], v[6:7], v[20:21]
	v_fma_f64 v[8:9], v[6:7], v[16:17], -v[8:9]
	v_mov_b32_e32 v14, s7
	v_addc_co_u32_e32 v1, vcc, v1, v14, vcc
	v_mul_f64 v[2:3], v[10:11], s[2:3]
	v_mul_f64 v[4:5], v[4:5], s[2:3]
	v_mov_b32_e32 v15, s5
	v_mul_f64 v[6:7], v[12:13], s[2:3]
	v_mul_f64 v[8:9], v[8:9], s[2:3]
	v_add_co_u32_e32 v10, vcc, s4, v0
	v_addc_co_u32_e32 v11, vcc, v1, v15, vcc
	global_store_dwordx4 v[0:1], v[2:5], off
	global_store_dwordx4 v[10:11], v[6:9], off
.LBB0_31:
	s_endpgm
	.section	.rodata,"a",@progbits
	.p2align	6, 0x0
	.amdhsa_kernel bluestein_single_back_len1470_dim1_dp_op_CI_CI
		.amdhsa_group_segment_fixed_size 23520
		.amdhsa_private_segment_fixed_size 0
		.amdhsa_kernarg_size 104
		.amdhsa_user_sgpr_count 6
		.amdhsa_user_sgpr_private_segment_buffer 1
		.amdhsa_user_sgpr_dispatch_ptr 0
		.amdhsa_user_sgpr_queue_ptr 0
		.amdhsa_user_sgpr_kernarg_segment_ptr 1
		.amdhsa_user_sgpr_dispatch_id 0
		.amdhsa_user_sgpr_flat_scratch_init 0
		.amdhsa_user_sgpr_private_segment_size 0
		.amdhsa_uses_dynamic_stack 0
		.amdhsa_system_sgpr_private_segment_wavefront_offset 0
		.amdhsa_system_sgpr_workgroup_id_x 1
		.amdhsa_system_sgpr_workgroup_id_y 0
		.amdhsa_system_sgpr_workgroup_id_z 0
		.amdhsa_system_sgpr_workgroup_info 0
		.amdhsa_system_vgpr_workitem_id 0
		.amdhsa_next_free_vgpr 212
		.amdhsa_next_free_sgpr 40
		.amdhsa_reserve_vcc 1
		.amdhsa_reserve_flat_scratch 0
		.amdhsa_float_round_mode_32 0
		.amdhsa_float_round_mode_16_64 0
		.amdhsa_float_denorm_mode_32 3
		.amdhsa_float_denorm_mode_16_64 3
		.amdhsa_dx10_clamp 1
		.amdhsa_ieee_mode 1
		.amdhsa_fp16_overflow 0
		.amdhsa_exception_fp_ieee_invalid_op 0
		.amdhsa_exception_fp_denorm_src 0
		.amdhsa_exception_fp_ieee_div_zero 0
		.amdhsa_exception_fp_ieee_overflow 0
		.amdhsa_exception_fp_ieee_underflow 0
		.amdhsa_exception_fp_ieee_inexact 0
		.amdhsa_exception_int_div_zero 0
	.end_amdhsa_kernel
	.text
.Lfunc_end0:
	.size	bluestein_single_back_len1470_dim1_dp_op_CI_CI, .Lfunc_end0-bluestein_single_back_len1470_dim1_dp_op_CI_CI
                                        ; -- End function
	.section	.AMDGPU.csdata,"",@progbits
; Kernel info:
; codeLenInByte = 12076
; NumSgprs: 44
; NumVgprs: 212
; ScratchSize: 0
; MemoryBound: 0
; FloatMode: 240
; IeeeMode: 1
; LDSByteSize: 23520 bytes/workgroup (compile time only)
; SGPRBlocks: 5
; VGPRBlocks: 52
; NumSGPRsForWavesPerEU: 44
; NumVGPRsForWavesPerEU: 212
; Occupancy: 1
; WaveLimiterHint : 1
; COMPUTE_PGM_RSRC2:SCRATCH_EN: 0
; COMPUTE_PGM_RSRC2:USER_SGPR: 6
; COMPUTE_PGM_RSRC2:TRAP_HANDLER: 0
; COMPUTE_PGM_RSRC2:TGID_X_EN: 1
; COMPUTE_PGM_RSRC2:TGID_Y_EN: 0
; COMPUTE_PGM_RSRC2:TGID_Z_EN: 0
; COMPUTE_PGM_RSRC2:TIDIG_COMP_CNT: 0
	.type	__hip_cuid_8de662e83261889e,@object ; @__hip_cuid_8de662e83261889e
	.section	.bss,"aw",@nobits
	.globl	__hip_cuid_8de662e83261889e
__hip_cuid_8de662e83261889e:
	.byte	0                               ; 0x0
	.size	__hip_cuid_8de662e83261889e, 1

	.ident	"AMD clang version 19.0.0git (https://github.com/RadeonOpenCompute/llvm-project roc-6.4.0 25133 c7fe45cf4b819c5991fe208aaa96edf142730f1d)"
	.section	".note.GNU-stack","",@progbits
	.addrsig
	.addrsig_sym __hip_cuid_8de662e83261889e
	.amdgpu_metadata
---
amdhsa.kernels:
  - .args:
      - .actual_access:  read_only
        .address_space:  global
        .offset:         0
        .size:           8
        .value_kind:     global_buffer
      - .actual_access:  read_only
        .address_space:  global
        .offset:         8
        .size:           8
        .value_kind:     global_buffer
      - .actual_access:  read_only
        .address_space:  global
        .offset:         16
        .size:           8
        .value_kind:     global_buffer
      - .actual_access:  read_only
        .address_space:  global
        .offset:         24
        .size:           8
        .value_kind:     global_buffer
      - .actual_access:  read_only
        .address_space:  global
        .offset:         32
        .size:           8
        .value_kind:     global_buffer
      - .offset:         40
        .size:           8
        .value_kind:     by_value
      - .address_space:  global
        .offset:         48
        .size:           8
        .value_kind:     global_buffer
      - .address_space:  global
        .offset:         56
        .size:           8
        .value_kind:     global_buffer
      - .address_space:  global
        .offset:         64
        .size:           8
        .value_kind:     global_buffer
      - .address_space:  global
        .offset:         72
        .size:           8
        .value_kind:     global_buffer
      - .offset:         80
        .size:           4
        .value_kind:     by_value
      - .address_space:  global
        .offset:         88
        .size:           8
        .value_kind:     global_buffer
      - .address_space:  global
        .offset:         96
        .size:           8
        .value_kind:     global_buffer
    .group_segment_fixed_size: 23520
    .kernarg_segment_align: 8
    .kernarg_segment_size: 104
    .language:       OpenCL C
    .language_version:
      - 2
      - 0
    .max_flat_workgroup_size: 210
    .name:           bluestein_single_back_len1470_dim1_dp_op_CI_CI
    .private_segment_fixed_size: 0
    .sgpr_count:     44
    .sgpr_spill_count: 0
    .symbol:         bluestein_single_back_len1470_dim1_dp_op_CI_CI.kd
    .uniform_work_group_size: 1
    .uses_dynamic_stack: false
    .vgpr_count:     212
    .vgpr_spill_count: 0
    .wavefront_size: 64
amdhsa.target:   amdgcn-amd-amdhsa--gfx906
amdhsa.version:
  - 1
  - 2
...

	.end_amdgpu_metadata
